;; amdgpu-corpus repo=zjin-lcf/HeCBench kind=compiled arch=gfx906 opt=O3
	.amdgcn_target "amdgcn-amd-amdhsa--gfx906"
	.amdhsa_code_object_version 6
	.text
	.protected	_Z7rombergddPd          ; -- Begin function _Z7rombergddPd
	.globl	_Z7rombergddPd
	.p2align	8
	.type	_Z7rombergddPd,@function
_Z7rombergddPd:                         ; @_Z7rombergddPd
; %bb.0:
	s_add_u32 s0, s0, s7
	s_load_dwordx4 s[8:11], s[4:5], 0x0
	s_load_dwordx2 s[18:19], s[4:5], 0x10
	s_load_dword s7, s[4:5], 0x18
	s_addc_u32 s1, s1, 0
	v_cvt_f64_u32_e32 v[13:14], s6
	s_waitcnt lgkmcnt(0)
	v_mov_b32_e32 v1, s8
	v_mov_b32_e32 v2, s9
	v_add_f64 v[1:2], s[10:11], -v[1:2]
	v_cvt_f64_u32_e32 v[3:4], s7
	s_load_dword s10, s[4:5], 0x24
	v_mov_b32_e32 v15, 0
	v_mov_b32_e32 v21, v0
	buffer_store_dword v15, off, s[0:3], 0 offset:4
	buffer_store_dword v15, off, s[0:3], 0
	buffer_store_dword v15, off, s[0:3], 0 offset:12
	buffer_store_dword v15, off, s[0:3], 0 offset:8
	;; [unrolled: 1-line block ×6, first 2 shown]
	s_waitcnt lgkmcnt(0)
	s_and_b32 s7, s10, 0xffff
	v_div_scale_f64 v[5:6], s[4:5], v[3:4], v[3:4], v[1:2]
	s_add_i32 s4, s6, 1
	buffer_store_dword v15, off, s[0:3], 0 offset:36
	buffer_store_dword v15, off, s[0:3], 0 offset:32
	;; [unrolled: 1-line block ×26, first 2 shown]
	v_rcp_f64_e32 v[7:8], v[5:6]
	v_fma_f64 v[9:10], -v[5:6], v[7:8], 1.0
	v_fma_f64 v[7:8], v[7:8], v[9:10], v[7:8]
	v_div_scale_f64 v[9:10], vcc, v[1:2], v[3:4], v[1:2]
	v_fma_f64 v[11:12], -v[5:6], v[7:8], 1.0
	v_fma_f64 v[7:8], v[7:8], v[11:12], v[7:8]
	v_mul_f64 v[11:12], v[9:10], v[7:8]
	v_fma_f64 v[5:6], -v[5:6], v[11:12], v[9:10]
	v_div_fmas_f64 v[5:6], v[5:6], v[7:8], v[11:12]
	v_div_fixup_f64 v[1:2], v[5:6], v[3:4], v[1:2]
	v_cvt_f64_u32_e32 v[3:4], s4
	v_cmp_eq_u32_e64 s[4:5], 0, v0
	v_fma_f64 v[3:4], v[1:2], v[3:4], s[8:9]
	v_fma_f64 v[1:2], v[1:2], v[13:14], s[8:9]
	s_and_saveexec_b64 s[20:21], s[4:5]
	s_cbranch_execz .LBB0_10
; %bb.1:
	s_mov_b32 s8, 0
	s_mov_b32 s9, 0x41d00000
	v_cmp_nlt_f64_e64 s[8:9], |v[1:2]|, s[8:9]
	s_and_b64 vcc, exec, s[8:9]
	s_cbranch_vccz .LBB0_3
; %bb.2:
	v_trig_preop_f64 v[5:6], |v[1:2]|, 0
	s_mov_b32 s8, 0
	s_mov_b32 s9, 0x7b000000
	s_movk_i32 s10, 0xff80
	v_ldexp_f64 v[9:10], |v[1:2]|, s10
	v_cmp_ge_f64_e64 vcc, |v[1:2]|, s[8:9]
	v_trig_preop_f64 v[7:8], |v[1:2]|, 1
	v_and_b32_e32 v11, 0x7fffffff, v2
	v_trig_preop_f64 v[17:18], |v[1:2]|, 2
	s_mov_b32 s8, 0
	s_mov_b32 s9, 0x7ff00000
	;; [unrolled: 1-line block ×3, first 2 shown]
	v_cndmask_b32_e32 v10, v11, v10, vcc
	v_cndmask_b32_e32 v9, v1, v9, vcc
	v_mul_f64 v[11:12], v[5:6], v[9:10]
	v_mul_f64 v[13:14], v[7:8], v[9:10]
	v_mul_f64 v[23:24], v[17:18], v[9:10]
	v_fma_f64 v[5:6], v[5:6], v[9:10], -v[11:12]
	v_fma_f64 v[7:8], v[7:8], v[9:10], -v[13:14]
	v_fma_f64 v[9:10], v[17:18], v[9:10], -v[23:24]
	v_add_f64 v[15:16], v[13:14], v[5:6]
	v_add_f64 v[19:20], v[15:16], -v[13:14]
	v_add_f64 v[25:26], v[11:12], v[15:16]
	v_add_f64 v[21:22], v[15:16], -v[19:20]
	v_add_f64 v[5:6], v[5:6], -v[19:20]
	v_add_f64 v[19:20], v[23:24], v[7:8]
	v_add_f64 v[11:12], v[25:26], -v[11:12]
	v_add_f64 v[13:14], v[13:14], -v[21:22]
	v_ldexp_f64 v[21:22], v[25:26], -2
	v_add_f64 v[11:12], v[15:16], -v[11:12]
	v_add_f64 v[5:6], v[5:6], v[13:14]
	v_fract_f64_e32 v[13:14], v[21:22]
	v_cmp_neq_f64_e64 vcc, |v[21:22]|, s[8:9]
	v_add_f64 v[15:16], v[19:20], v[5:6]
	v_ldexp_f64 v[13:14], v[13:14], 2
	v_add_f64 v[21:22], v[11:12], v[15:16]
	v_cndmask_b32_e32 v14, 0, v14, vcc
	v_cndmask_b32_e32 v13, 0, v13, vcc
	v_add_f64 v[27:28], v[15:16], -v[19:20]
	v_add_f64 v[25:26], v[21:22], v[13:14]
	v_add_f64 v[11:12], v[21:22], -v[11:12]
	v_add_f64 v[31:32], v[15:16], -v[27:28]
	;; [unrolled: 1-line block ×3, first 2 shown]
	v_cmp_gt_f64_e32 vcc, 0, v[25:26]
	v_add_f64 v[25:26], v[19:20], -v[23:24]
	v_add_f64 v[11:12], v[15:16], -v[11:12]
	s_and_b64 s[8:9], vcc, exec
	s_cselect_b32 s11, 0x40100000, 0
	v_add_f64 v[13:14], v[13:14], s[10:11]
	v_add_f64 v[29:30], v[19:20], -v[25:26]
	v_add_f64 v[7:8], v[7:8], -v[25:26]
	;; [unrolled: 1-line block ×3, first 2 shown]
	v_add_f64 v[33:34], v[21:22], v[13:14]
	v_add_f64 v[25:26], v[23:24], -v[29:30]
	v_add_f64 v[5:6], v[5:6], v[19:20]
	v_cvt_i32_f64_e32 v29, v[33:34]
	v_add_f64 v[7:8], v[7:8], v[25:26]
	v_cvt_f64_i32_e32 v[27:28], v29
	v_add_f64 v[13:14], v[13:14], -v[27:28]
	v_add_f64 v[5:6], v[7:8], v[5:6]
	v_add_f64 v[7:8], v[21:22], v[13:14]
	;; [unrolled: 1-line block ×3, first 2 shown]
	v_add_f64 v[9:10], v[7:8], -v[13:14]
	v_cmp_le_f64_e32 vcc, 0.5, v[7:8]
	v_add_f64 v[5:6], v[11:12], v[5:6]
	v_add_f64 v[9:10], v[21:22], -v[9:10]
	s_and_b64 s[8:9], vcc, exec
	s_cselect_b32 s11, 0x3ff00000, 0
	v_add_f64 v[7:8], v[7:8], -s[10:11]
	v_addc_co_u32_e64 v29, s[8:9], 0, v29, vcc
	s_mov_b32 s8, 0x54442d18
	s_mov_b32 s9, 0x3ff921fb
	v_add_f64 v[5:6], v[5:6], v[9:10]
	s_mov_b32 s10, 0x33145c07
	s_mov_b32 s11, 0x3c91a626
	v_add_f64 v[9:10], v[7:8], v[5:6]
	v_mul_f64 v[11:12], v[9:10], s[8:9]
	v_add_f64 v[7:8], v[9:10], -v[7:8]
	v_fma_f64 v[13:14], v[9:10], s[8:9], -v[11:12]
	v_add_f64 v[5:6], v[5:6], -v[7:8]
	v_fma_f64 v[7:8], v[9:10], s[10:11], v[13:14]
	v_fma_f64 v[7:8], v[5:6], s[8:9], v[7:8]
	v_add_f64 v[5:6], v[11:12], v[7:8]
	v_add_f64 v[9:10], v[5:6], -v[11:12]
	v_add_f64 v[7:8], v[7:8], -v[9:10]
	s_cbranch_execz .LBB0_4
	s_branch .LBB0_5
.LBB0_3:
                                        ; implicit-def: $vgpr29
                                        ; implicit-def: $vgpr5_vgpr6
                                        ; implicit-def: $vgpr7_vgpr8
.LBB0_4:
	s_mov_b32 s8, 0x6dc9c883
	s_mov_b32 s9, 0x3fe45f30
	v_mul_f64 v[5:6], |v[1:2]|, s[8:9]
	s_mov_b32 s8, 0x54442d18
	s_mov_b32 s9, 0xbff921fb
	;; [unrolled: 1-line block ×4, first 2 shown]
	v_rndne_f64_e32 v[9:10], v[5:6]
	v_fma_f64 v[5:6], v[9:10], s[8:9], |v[1:2]|
	v_mul_f64 v[7:8], v[9:10], s[10:11]
	s_mov_b32 s8, 0x252049c0
	s_mov_b32 s9, 0xb97b839a
	v_cvt_i32_f64_e32 v29, v[9:10]
	v_fma_f64 v[15:16], v[9:10], s[10:11], v[5:6]
	v_add_f64 v[11:12], v[5:6], v[7:8]
	s_mov_b32 s11, 0x3c91a626
	v_add_f64 v[13:14], v[5:6], -v[11:12]
	v_add_f64 v[11:12], v[11:12], -v[15:16]
	v_add_f64 v[5:6], v[13:14], v[7:8]
	v_fma_f64 v[7:8], v[9:10], s[10:11], v[7:8]
	v_add_f64 v[5:6], v[11:12], v[5:6]
	v_add_f64 v[5:6], v[5:6], -v[7:8]
	v_fma_f64 v[7:8], v[9:10], s[8:9], v[5:6]
	v_add_f64 v[5:6], v[15:16], v[7:8]
	v_add_f64 v[11:12], v[5:6], -v[15:16]
	v_add_f64 v[7:8], v[7:8], -v[11:12]
.LBB0_5:
	s_mov_b32 s8, 0
	s_mov_b32 s9, 0x41d00000
	v_cmp_nlt_f64_e64 s[8:9], |v[3:4]|, s[8:9]
	s_and_b64 vcc, exec, s[8:9]
	s_cbranch_vccz .LBB0_7
; %bb.6:
	v_trig_preop_f64 v[9:10], |v[3:4]|, 0
	s_mov_b32 s8, 0
	s_mov_b32 s9, 0x7b000000
	s_movk_i32 s10, 0xff80
	v_ldexp_f64 v[13:14], |v[3:4]|, s10
	v_cmp_ge_f64_e64 vcc, |v[3:4]|, s[8:9]
	v_trig_preop_f64 v[11:12], |v[3:4]|, 1
	v_and_b32_e32 v15, 0x7fffffff, v4
	v_trig_preop_f64 v[21:22], |v[3:4]|, 2
	s_mov_b32 s8, 0
	s_mov_b32 s9, 0x7ff00000
	;; [unrolled: 1-line block ×3, first 2 shown]
	v_cndmask_b32_e32 v14, v15, v14, vcc
	v_cndmask_b32_e32 v13, v3, v13, vcc
	v_mul_f64 v[15:16], v[9:10], v[13:14]
	v_mul_f64 v[17:18], v[11:12], v[13:14]
	;; [unrolled: 1-line block ×3, first 2 shown]
	v_fma_f64 v[9:10], v[9:10], v[13:14], -v[15:16]
	v_fma_f64 v[11:12], v[11:12], v[13:14], -v[17:18]
	;; [unrolled: 1-line block ×3, first 2 shown]
	v_add_f64 v[19:20], v[17:18], v[9:10]
	v_add_f64 v[23:24], v[19:20], -v[17:18]
	v_add_f64 v[30:31], v[15:16], v[19:20]
	v_add_f64 v[25:26], v[19:20], -v[23:24]
	v_add_f64 v[9:10], v[9:10], -v[23:24]
	v_add_f64 v[23:24], v[27:28], v[11:12]
	v_add_f64 v[15:16], v[30:31], -v[15:16]
	v_add_f64 v[17:18], v[17:18], -v[25:26]
	v_ldexp_f64 v[25:26], v[30:31], -2
	v_add_f64 v[15:16], v[19:20], -v[15:16]
	v_add_f64 v[9:10], v[9:10], v[17:18]
	v_fract_f64_e32 v[17:18], v[25:26]
	v_cmp_neq_f64_e64 vcc, |v[25:26]|, s[8:9]
	v_add_f64 v[19:20], v[23:24], v[9:10]
	v_ldexp_f64 v[17:18], v[17:18], 2
	v_add_f64 v[25:26], v[15:16], v[19:20]
	v_cndmask_b32_e32 v18, 0, v18, vcc
	v_cndmask_b32_e32 v17, 0, v17, vcc
	v_add_f64 v[32:33], v[19:20], -v[23:24]
	v_add_f64 v[30:31], v[25:26], v[17:18]
	v_add_f64 v[15:16], v[25:26], -v[15:16]
	v_add_f64 v[36:37], v[19:20], -v[32:33]
	;; [unrolled: 1-line block ×3, first 2 shown]
	v_cmp_gt_f64_e32 vcc, 0, v[30:31]
	v_add_f64 v[30:31], v[23:24], -v[27:28]
	v_add_f64 v[15:16], v[19:20], -v[15:16]
	s_and_b64 s[8:9], vcc, exec
	s_cselect_b32 s11, 0x40100000, 0
	v_add_f64 v[17:18], v[17:18], s[10:11]
	v_add_f64 v[34:35], v[23:24], -v[30:31]
	v_add_f64 v[11:12], v[11:12], -v[30:31]
	;; [unrolled: 1-line block ×3, first 2 shown]
	v_add_f64 v[38:39], v[25:26], v[17:18]
	v_add_f64 v[30:31], v[27:28], -v[34:35]
	v_add_f64 v[9:10], v[9:10], v[23:24]
	v_cvt_i32_f64_e32 v34, v[38:39]
	v_add_f64 v[11:12], v[11:12], v[30:31]
	v_cvt_f64_i32_e32 v[32:33], v34
	v_add_f64 v[17:18], v[17:18], -v[32:33]
	v_add_f64 v[9:10], v[11:12], v[9:10]
	v_add_f64 v[11:12], v[25:26], v[17:18]
	v_add_f64 v[9:10], v[13:14], v[9:10]
	v_add_f64 v[13:14], v[11:12], -v[17:18]
	v_cmp_le_f64_e32 vcc, 0.5, v[11:12]
	v_add_f64 v[9:10], v[15:16], v[9:10]
	v_add_f64 v[13:14], v[25:26], -v[13:14]
	s_and_b64 s[8:9], vcc, exec
	s_cselect_b32 s11, 0x3ff00000, 0
	v_add_f64 v[11:12], v[11:12], -s[10:11]
	v_addc_co_u32_e64 v30, s[8:9], 0, v34, vcc
	s_mov_b32 s8, 0x54442d18
	s_mov_b32 s9, 0x3ff921fb
	v_add_f64 v[9:10], v[9:10], v[13:14]
	s_mov_b32 s10, 0x33145c07
	s_mov_b32 s11, 0x3c91a626
	v_add_f64 v[13:14], v[11:12], v[9:10]
	v_mul_f64 v[15:16], v[13:14], s[8:9]
	v_add_f64 v[11:12], v[13:14], -v[11:12]
	v_fma_f64 v[17:18], v[13:14], s[8:9], -v[15:16]
	v_add_f64 v[9:10], v[9:10], -v[11:12]
	v_fma_f64 v[11:12], v[13:14], s[10:11], v[17:18]
	v_fma_f64 v[11:12], v[9:10], s[8:9], v[11:12]
	v_add_f64 v[9:10], v[15:16], v[11:12]
	v_add_f64 v[13:14], v[9:10], -v[15:16]
	v_add_f64 v[11:12], v[11:12], -v[13:14]
	s_cbranch_execz .LBB0_8
	s_branch .LBB0_9
.LBB0_7:
                                        ; implicit-def: $vgpr30
                                        ; implicit-def: $vgpr9_vgpr10
                                        ; implicit-def: $vgpr11_vgpr12
.LBB0_8:
	s_mov_b32 s8, 0x6dc9c883
	s_mov_b32 s9, 0x3fe45f30
	v_mul_f64 v[9:10], |v[3:4]|, s[8:9]
	s_mov_b32 s8, 0x54442d18
	s_mov_b32 s9, 0xbff921fb
	;; [unrolled: 1-line block ×4, first 2 shown]
	v_rndne_f64_e32 v[13:14], v[9:10]
	v_fma_f64 v[9:10], v[13:14], s[8:9], |v[3:4]|
	v_mul_f64 v[11:12], v[13:14], s[10:11]
	s_mov_b32 s8, 0x252049c0
	s_mov_b32 s9, 0xb97b839a
	v_cvt_i32_f64_e32 v30, v[13:14]
	v_fma_f64 v[19:20], v[13:14], s[10:11], v[9:10]
	v_add_f64 v[15:16], v[9:10], v[11:12]
	s_mov_b32 s11, 0x3c91a626
	v_add_f64 v[17:18], v[9:10], -v[15:16]
	v_add_f64 v[15:16], v[15:16], -v[19:20]
	v_add_f64 v[9:10], v[17:18], v[11:12]
	v_fma_f64 v[11:12], v[13:14], s[10:11], v[11:12]
	v_add_f64 v[9:10], v[15:16], v[9:10]
	v_add_f64 v[9:10], v[9:10], -v[11:12]
	v_fma_f64 v[11:12], v[13:14], s[8:9], v[9:10]
	v_add_f64 v[9:10], v[19:20], v[11:12]
	v_add_f64 v[15:16], v[9:10], -v[19:20]
	v_add_f64 v[11:12], v[11:12], -v[15:16]
.LBB0_9:
	s_mov_b32 s22, 0x652b82fe
	s_mov_b32 s23, 0x3ff71547
	v_mul_f64 v[13:14], v[1:2], s[22:23]
	s_mov_b32 s30, 0xfefa39ef
	s_mov_b32 s31, 0xbfe62e42
	v_mul_f64 v[17:18], v[3:4], s[22:23]
	s_mov_b32 s26, 0x3b39803f
	s_mov_b32 s27, 0xbc7abc9e
	;; [unrolled: 1-line block ×4, first 2 shown]
	v_rndne_f64_e32 v[13:14], v[13:14]
	s_mov_b32 s28, 0x6a5dcb37
	v_mov_b32_e32 v24, s17
	s_mov_b32 s29, 0x3e5ade15
	v_mov_b32_e32 v23, s16
	s_mov_b32 s24, 0x623fde64
	s_mov_b32 s25, 0x3ec71dee
	;; [unrolled: 1-line block ×3, first 2 shown]
	v_fma_f64 v[15:16], v[13:14], s[30:31], v[1:2]
	s_mov_b32 s15, 0x3efa0199
	s_mov_b32 s10, 0x14761f6e
	;; [unrolled: 1-line block ×5, first 2 shown]
	v_mul_f64 v[21:22], v[5:6], v[5:6]
	s_mov_b32 s8, 0x11122322
	v_fma_f64 v[19:20], v[13:14], s[26:27], v[15:16]
	v_rndne_f64_e32 v[15:16], v[17:18]
	s_mov_b32 s9, 0x3f811111
	s_mov_b32 s54, 0xb42fdfa7
	;; [unrolled: 1-line block ×4, first 2 shown]
	v_mov_b32_e32 v38, s54
	s_mov_b32 s53, 0x3de5e0b2
	v_fma_f64 v[17:18], v[19:20], s[28:29], v[23:24]
	v_fma_f64 v[25:26], v[15:16], s[30:31], v[3:4]
	v_mov_b32_e32 v39, s55
	v_fma_f64 v[40:41], v[21:22], s[52:53], v[38:39]
	s_mov_b32 s38, 0x555502a1
	s_mov_b32 s39, 0x3fa55555
	;; [unrolled: 1-line block ×4, first 2 shown]
	v_fma_f64 v[27:28], v[19:20], v[17:18], s[24:25]
	v_fma_f64 v[17:18], v[15:16], s[26:27], v[25:26]
	s_mov_b32 s44, 0x46cc5e42
	s_mov_b32 s48, 0x796cde01
	v_mov_b32_e32 v36, s50
	s_mov_b32 s45, 0xbda907db
	s_mov_b32 s49, 0x3ec71de3
	v_mov_b32_e32 v37, s51
	v_fma_f64 v[25:26], v[19:20], v[27:28], s[14:15]
	v_fma_f64 v[23:24], v[17:18], s[28:29], v[23:24]
	v_mul_f64 v[27:28], v[9:10], v[9:10]
	v_mul_f64 v[42:43], v[21:22], 0.5
	v_fma_f64 v[46:47], v[21:22], s[44:45], v[36:37]
	v_fma_f64 v[40:41], v[21:22], v[40:41], s[48:49]
	s_mov_b32 s36, 0x55555511
	s_mov_b32 s37, 0x3fc55555
	v_fma_f64 v[25:26], v[19:20], v[25:26], s[10:11]
	v_fma_f64 v[32:33], v[17:18], v[23:24], s[24:25]
	;; [unrolled: 1-line block ×3, first 2 shown]
	s_mov_b32 s42, 0xa17f65f6
	s_mov_b32 s46, 0x19e83e5c
	;; [unrolled: 1-line block ×4, first 2 shown]
	v_fma_f64 v[46:47], v[21:22], v[46:47], s[42:43]
	v_fma_f64 v[25:26], v[19:20], v[25:26], s[12:13]
	;; [unrolled: 1-line block ×3, first 2 shown]
	v_add_f64 v[52:53], -v[42:43], 1.0
	v_fma_f64 v[40:41], v[21:22], v[40:41], s[46:47]
	s_mov_b32 s34, 11
	s_mov_b32 s35, 0x3fe00000
	v_mul_f64 v[50:51], v[27:28], 0.5
	v_fma_f64 v[36:37], v[27:28], s[44:45], v[36:37]
	v_fma_f64 v[25:26], v[19:20], v[25:26], s[8:9]
	;; [unrolled: 1-line block ×4, first 2 shown]
	s_mov_b32 s40, 0x19f4ec90
	s_mov_b32 s41, 0x3efa01a0
	;; [unrolled: 1-line block ×4, first 2 shown]
	v_mul_f64 v[23:24], v[7:8], 0.5
	v_fma_f64 v[25:26], v[19:20], v[25:26], s[38:39]
	v_fma_f64 v[32:33], v[17:18], v[32:33], s[12:13]
	v_mul_f64 v[48:49], v[5:6], -v[21:22]
	v_fma_f64 v[46:47], v[21:22], v[46:47], s[40:41]
	v_add_f64 v[58:59], -v[52:53], 1.0
	v_fma_f64 v[40:41], v[21:22], v[40:41], s[28:29]
	v_add_f64 v[56:57], -v[50:51], 1.0
	v_fma_f64 v[36:37], v[27:28], v[36:37], s[42:43]
	v_fma_f64 v[25:26], v[19:20], v[25:26], s[36:37]
	;; [unrolled: 1-line block ×3, first 2 shown]
	v_cvt_i32_f64_e32 v60, v[13:14]
	v_fma_f64 v[13:14], v[27:28], v[38:39], s[46:47]
	s_mov_b32 s30, 0x16c16967
	s_mov_b32 s31, 0xbf56c16c
	v_fma_f64 v[38:39], v[21:22], v[46:47], s[30:31]
	v_add_f64 v[42:43], v[58:59], -v[42:43]
	v_fma_f64 v[25:26], v[19:20], v[25:26], s[34:35]
	v_fma_f64 v[32:33], v[17:18], v[32:33], s[38:39]
	;; [unrolled: 1-line block ×3, first 2 shown]
	v_mul_f64 v[34:35], v[11:12], 0.5
	v_mul_f64 v[54:55], v[9:10], -v[27:28]
	v_add_f64 v[40:41], -v[56:57], 1.0
	v_fma_f64 v[13:14], v[27:28], v[13:14], s[28:29]
	s_mov_b32 s26, 0x55555555
	v_fma_f64 v[25:26], v[19:20], v[25:26], 1.0
	v_fma_f64 v[32:33], v[17:18], v[32:33], s[36:37]
	s_mov_b32 s27, s39
	v_mul_f64 v[44:45], v[21:22], v[21:22]
	s_mov_b32 s25, 0xbfc55555
	s_mov_b32 s24, s26
	v_fma_f64 v[13:14], v[54:55], v[13:14], v[34:35]
	s_mov_b32 s16, 0
	v_fma_f64 v[19:20], v[19:20], v[25:26], 1.0
	v_fma_f64 v[25:26], v[27:28], v[36:37], s[40:41]
	v_fma_f64 v[36:37], v[21:22], v[38:39], s[26:27]
	v_fma_f64 v[38:39], v[5:6], -v[7:8], v[42:43]
	v_fma_f64 v[7:8], v[21:22], v[23:24], -v[7:8]
	v_fma_f64 v[21:22], v[17:18], v[32:33], s[34:35]
	v_add_f64 v[32:33], v[40:41], -v[50:51]
	v_mul_f64 v[23:24], v[27:28], v[27:28]
	s_mov_b32 s17, 0x40900000
	v_fma_f64 v[25:26], v[27:28], v[25:26], s[30:31]
	s_mov_b32 s22, 0
	s_mov_b32 s23, 0xc090cc00
	v_fma_f64 v[7:8], v[48:49], s[24:25], v[7:8]
	v_fma_f64 v[21:22], v[17:18], v[21:22], 1.0
	v_fma_f64 v[32:33], v[9:10], -v[11:12], v[32:33]
	v_fma_f64 v[11:12], v[27:28], v[13:14], -v[11:12]
	v_ldexp_f64 v[19:20], v[19:20], v60
	v_fma_f64 v[25:26], v[27:28], v[25:26], s[26:27]
	v_cmp_nlt_f64_e32 vcc, s[16:17], v[1:2]
	v_cmp_ngt_f64_e64 s[8:9], s[22:23], v[1:2]
	v_add_f64 v[5:6], v[5:6], -v[7:8]
	v_fma_f64 v[17:18], v[17:18], v[21:22], 1.0
	v_cvt_i32_f64_e32 v16, v[15:16]
	v_fma_f64 v[14:15], v[54:55], s[24:25], v[11:12]
	v_mov_b32_e32 v31, 0x7ff00000
	v_fma_f64 v[7:8], v[23:24], v[25:26], v[32:33]
	v_cndmask_b32_e32 v20, v31, v20, vcc
	v_cndmask_b32_e64 v13, 0, v20, s[8:9]
	s_and_b64 vcc, s[8:9], vcc
	v_ldexp_f64 v[16:17], v[17:18], v16
	v_cmp_nlt_f64_e64 s[8:9], s[16:17], v[3:4]
	v_cmp_ngt_f64_e64 s[10:11], s[22:23], v[3:4]
	v_add_f64 v[9:10], v[9:10], -v[14:15]
	v_add_f64 v[7:8], v[56:57], v[7:8]
	v_fma_f64 v[34:35], v[44:45], v[36:37], v[38:39]
	s_movk_i32 s24, 0x1f8
	v_and_b32_e32 v11, 1, v29
	v_cmp_class_f64_e64 s[16:17], v[3:4], s24
	v_cndmask_b32_e32 v12, 0, v19, vcc
	v_cmp_eq_u32_e32 vcc, 0, v11
	v_cndmask_b32_e64 v11, v31, v17, s[8:9]
	v_cndmask_b32_e64 v15, 0, v11, s[10:11]
	v_and_b32_e32 v11, 1, v30
	v_cmp_eq_u32_e64 s[14:15], 0, v11
	v_cndmask_b32_e64 v7, v7, v9, s[14:15]
	v_lshlrev_b32_e32 v9, 30, v30
	v_xor_b32_e32 v9, v9, v4
	v_add_f64 v[20:21], v[52:53], v[34:35]
	v_cndmask_b32_e64 v8, v8, v10, s[14:15]
	v_and_b32_e32 v9, 0x80000000, v9
	v_mov_b32_e32 v17, 0x7ff80000
	s_and_b64 s[8:9], s[10:11], s[8:9]
	v_xor_b32_e32 v8, v8, v9
	v_cmp_class_f64_e64 s[12:13], v[1:2], s24
	v_cndmask_b32_e64 v14, 0, v16, s[8:9]
	v_cndmask_b32_e64 v7, 0, v7, s[16:17]
	;; [unrolled: 1-line block ×3, first 2 shown]
	v_mul_f64 v[7:8], v[14:15], v[7:8]
	v_lshlrev_b32_e32 v9, 30, v29
	v_xor_b32_e32 v9, v9, v2
	v_cndmask_b32_e32 v6, v21, v6, vcc
	v_and_b32_e32 v9, 0x80000000, v9
	v_cndmask_b32_e32 v5, v20, v5, vcc
	v_xor_b32_e32 v6, v6, v9
	v_cndmask_b32_e64 v5, 0, v5, s[12:13]
	v_cndmask_b32_e64 v6, v17, v6, s[12:13]
	v_fma_f64 v[5:6], v[12:13], v[5:6], v[7:8]
	v_mov_b32_e32 v21, s7
	buffer_store_dword v6, off, s[0:3], 0 offset:4
	buffer_store_dword v5, off, s[0:3], 0
.LBB0_10:
	s_or_b64 exec, exec, s[20:21]
	v_add_f64 v[5:6], v[3:4], -v[1:2]
	s_mov_b32 s56, 0x11110bb3
	s_mov_b32 s60, 0x555502a1
	;; [unrolled: 1-line block ×7, first 2 shown]
	v_ldexp_f64 v[3:4], v[5:6], -16
	s_mov_b32 s36, 0x33145c00
	s_mov_b32 s38, 0x252049c0
	;; [unrolled: 1-line block ×24, first 2 shown]
	s_movk_i32 s33, 0x78
	v_sub_u32_e32 v22, 0, v21
	s_mov_b64 s[14:15], 0
	s_mov_b32 s17, 0x41d00000
	s_mov_b32 s21, 0x7b000000
	s_movk_i32 s88, 0xff80
	s_mov_b32 s23, 0x7ff00000
	v_mov_b32_e32 v7, 0
	s_mov_b32 s25, 0x3ff921fb
	s_mov_b32 s27, 0xbff921fb
	;; [unrolled: 1-line block ×31, first 2 shown]
	s_movk_i32 s89, 0x1f8
	s_mov_b32 s90, 0x800000
	s_mov_b32 s91, 0xffff
	v_mov_b32_e32 v23, 0x40100000
	v_mov_b32_e32 v24, 0x3ff00000
	;; [unrolled: 1-line block ×11, first 2 shown]
	s_branch .LBB0_12
.LBB0_11:                               ;   in Loop: Header=BB0_12 Depth=1
	s_or_b64 exec, exec, s[8:9]
	v_mul_f64 v[28:29], v[15:16], s[40:41]
	v_and_b32_e32 v34, v21, v22
	v_cvt_f32_u32_e32 v36, v34
	v_mul_f64 v[34:35], v[17:18], v[17:18]
	v_mul_f64 v[46:47], v[19:20], 0.5
	v_cmp_nlt_f64_e64 s[10:11], s[66:67], v[15:16]
	v_cmp_gt_f32_e32 vcc, s90, v36
	v_cndmask_b32_e64 v37, 0, 32, vcc
	v_rndne_f64_e32 v[28:29], v[28:29]
	v_ldexp_f32 v36, v36, v37
	v_log_f32_e32 v36, v36
	v_cndmask_b32_e32 v37, 0, v27, vcc
	v_fma_f64 v[38:39], v[34:35], s[70:71], v[11:12]
	v_mul_f64 v[42:43], v[34:35], 0.5
	v_sub_f32_e32 v36, v36, v37
	v_add_f32_e32 v36, 1.0, v36
	v_fma_f64 v[30:31], v[28:29], s[42:43], v[15:16]
	v_cvt_u32_f32_e32 v40, v36
	v_fma_f64 v[36:37], v[34:35], s[82:83], v[13:14]
	v_mul_f64 v[48:49], v[17:18], -v[34:35]
	v_fma_f64 v[38:39], v[34:35], v[38:39], s[72:73]
	v_lshlrev_b32_e32 v40, 3, v40
	v_sub_u32_e32 v52, 0, v40
	buffer_load_dword v40, v52, s[0:3], 0 offen offset:136
	buffer_load_dword v41, v52, s[0:3], 0 offen offset:140
	v_fma_f64 v[30:31], v[28:29], s[44:45], v[30:31]
	v_add_f64 v[44:45], -v[42:43], 1.0
	v_fma_f64 v[36:37], v[34:35], v[36:37], s[84:85]
	v_cmp_ngt_f64_e64 s[12:13], s[68:69], v[15:16]
	v_fma_f64 v[38:39], v[34:35], v[38:39], s[74:75]
	v_cmp_class_f64_e64 s[8:9], v[15:16], s89
	v_add_u32_e32 v21, s7, v21
	v_subrev_u32_e32 v22, s7, v22
	v_fma_f64 v[32:33], v[30:31], s[46:47], v[9:10]
	v_add_f64 v[50:51], -v[44:45], 1.0
	v_fma_f64 v[36:37], v[34:35], v[36:37], s[86:87]
	v_fma_f64 v[38:39], v[34:35], v[38:39], s[76:77]
	;; [unrolled: 1-line block ×3, first 2 shown]
	v_add_f64 v[42:43], v[50:51], -v[42:43]
	v_fma_f64 v[36:37], v[34:35], v[36:37], s[56:57]
	v_fma_f64 v[38:39], v[34:35], v[38:39], s[80:81]
	v_fma_f64 v[32:33], v[30:31], v[32:33], s[50:51]
	v_fma_f64 v[42:43], v[17:18], -v[19:20], v[42:43]
	v_fma_f64 v[36:37], v[48:49], v[36:37], v[46:47]
	v_mul_f64 v[46:47], v[34:35], v[34:35]
	v_fma_f64 v[32:33], v[30:31], v[32:33], s[52:53]
	v_fma_f64 v[19:20], v[34:35], v[36:37], -v[19:20]
	v_fma_f64 v[34:35], v[46:47], v[38:39], v[42:43]
	v_fma_f64 v[32:33], v[30:31], v[32:33], s[54:55]
	;; [unrolled: 1-line block ×4, first 2 shown]
	v_add_f64 v[17:18], v[17:18], -v[19:20]
	v_fma_f64 v[32:33], v[30:31], v[32:33], s[60:61]
	v_fma_f64 v[32:33], v[30:31], v[32:33], s[62:63]
	v_fma_f64 v[32:33], v[30:31], v[32:33], s[64:65]
	v_fma_f64 v[32:33], v[30:31], v[32:33], 1.0
	v_fma_f64 v[30:31], v[30:31], v[32:33], 1.0
	v_cvt_i32_f64_e32 v32, v[28:29]
	v_add_f64 v[28:29], v[44:45], v[34:35]
	v_ldexp_f64 v[19:20], v[30:31], v32
	v_and_b32_e32 v30, 1, v8
	v_lshlrev_b32_e32 v8, 30, v8
	v_cmp_eq_u32_e32 vcc, 0, v30
	v_xor_b32_e32 v8, v8, v16
	v_and_b32_e32 v8, 0x80000000, v8
	v_cndmask_b32_e32 v15, v29, v18, vcc
	v_cndmask_b32_e32 v17, v28, v17, vcc
	v_cndmask_b32_e64 v20, v25, v20, s[10:11]
	v_xor_b32_e32 v8, v15, v8
	s_and_b64 vcc, s[12:13], s[10:11]
	v_cndmask_b32_e64 v15, 0, v17, s[8:9]
	v_cndmask_b32_e64 v16, v26, v8, s[8:9]
	;; [unrolled: 1-line block ×3, first 2 shown]
	v_cndmask_b32_e32 v17, 0, v19, vcc
	v_mul_f64 v[15:16], v[17:18], v[15:16]
	v_cmp_lt_u32_e32 vcc, s91, v21
	s_or_b64 s[14:15], vcc, s[14:15]
	s_waitcnt vmcnt(0)
	v_fma_f64 v[15:16], v[15:16], 2.0, v[40:41]
	buffer_store_dword v15, v52, s[0:3], 0 offen offset:136
	buffer_store_dword v16, v52, s[0:3], 0 offen offset:140
	s_andn2_b64 exec, exec, s[14:15]
	s_cbranch_execz .LBB0_16
.LBB0_12:                               ; =>This Inner Loop Header: Depth=1
	v_cvt_f64_u32_e32 v[15:16], v21
                                        ; implicit-def: $vgpr8
                                        ; implicit-def: $vgpr17_vgpr18
                                        ; implicit-def: $vgpr19_vgpr20
	v_fma_f64 v[15:16], v[3:4], v[15:16], v[1:2]
	v_cmp_nlt_f64_e64 s[8:9], |v[15:16]|, s[16:17]
	s_and_saveexec_b64 s[10:11], s[8:9]
	s_xor_b64 s[8:9], exec, s[10:11]
	s_cbranch_execz .LBB0_14
; %bb.13:                               ;   in Loop: Header=BB0_12 Depth=1
	v_trig_preop_f64 v[17:18], |v[15:16]|, 0
	v_ldexp_f64 v[19:20], |v[15:16]|, s88
	v_cmp_ge_f64_e64 vcc, |v[15:16]|, s[20:21]
	v_trig_preop_f64 v[28:29], |v[15:16]|, 1
	v_and_b32_e32 v8, 0x7fffffff, v16
	v_trig_preop_f64 v[36:37], |v[15:16]|, 2
	s_mov_b32 s24, s26
	s_mov_b32 s31, s29
	v_cndmask_b32_e32 v20, v8, v20, vcc
	v_cndmask_b32_e32 v19, v15, v19, vcc
	v_mul_f64 v[30:31], v[17:18], v[19:20]
	v_mul_f64 v[32:33], v[28:29], v[19:20]
	;; [unrolled: 1-line block ×3, first 2 shown]
	v_fma_f64 v[17:18], v[17:18], v[19:20], -v[30:31]
	v_fma_f64 v[28:29], v[28:29], v[19:20], -v[32:33]
	;; [unrolled: 1-line block ×3, first 2 shown]
	v_add_f64 v[34:35], v[32:33], v[17:18]
	v_add_f64 v[38:39], v[34:35], -v[32:33]
	v_add_f64 v[44:45], v[30:31], v[34:35]
	v_add_f64 v[40:41], v[34:35], -v[38:39]
	v_add_f64 v[17:18], v[17:18], -v[38:39]
	v_add_f64 v[38:39], v[42:43], v[28:29]
	v_add_f64 v[30:31], v[44:45], -v[30:31]
	v_add_f64 v[32:33], v[32:33], -v[40:41]
	v_ldexp_f64 v[40:41], v[44:45], -2
	v_add_f64 v[46:47], v[38:39], -v[42:43]
	v_add_f64 v[30:31], v[34:35], -v[30:31]
	v_add_f64 v[17:18], v[17:18], v[32:33]
	v_fract_f64_e32 v[32:33], v[40:41]
	v_cmp_neq_f64_e64 vcc, |v[40:41]|, s[22:23]
	v_add_f64 v[28:29], v[28:29], -v[46:47]
	v_add_f64 v[34:35], v[38:39], v[17:18]
	v_ldexp_f64 v[32:33], v[32:33], 2
	v_add_f64 v[40:41], v[30:31], v[34:35]
	v_cndmask_b32_e32 v33, 0, v33, vcc
	v_cndmask_b32_e32 v32, 0, v32, vcc
	v_add_f64 v[48:49], v[34:35], -v[38:39]
	v_add_f64 v[44:45], v[40:41], v[32:33]
	v_add_f64 v[30:31], v[40:41], -v[30:31]
	v_add_f64 v[50:51], v[34:35], -v[48:49]
	v_add_f64 v[17:18], v[17:18], -v[48:49]
	v_cmp_gt_f64_e32 vcc, 0, v[44:45]
	v_add_f64 v[44:45], v[38:39], -v[46:47]
	v_add_f64 v[30:31], v[34:35], -v[30:31]
	;; [unrolled: 1-line block ×3, first 2 shown]
	v_cndmask_b32_e32 v8, 0, v23, vcc
	v_add_f64 v[32:33], v[32:33], v[7:8]
	v_add_f64 v[44:45], v[42:43], -v[44:45]
	v_add_f64 v[17:18], v[17:18], v[38:39]
	v_add_f64 v[52:53], v[40:41], v[32:33]
	;; [unrolled: 1-line block ×3, first 2 shown]
	v_cvt_i32_f64_e32 v48, v[52:53]
	v_add_f64 v[17:18], v[28:29], v[17:18]
	v_cvt_f64_i32_e32 v[46:47], v48
	v_add_f64 v[32:33], v[32:33], -v[46:47]
	v_add_f64 v[17:18], v[19:20], v[17:18]
	v_add_f64 v[28:29], v[40:41], v[32:33]
	;; [unrolled: 1-line block ×3, first 2 shown]
	v_add_f64 v[19:20], v[28:29], -v[32:33]
	v_cmp_le_f64_e32 vcc, 0.5, v[28:29]
	v_add_f64 v[19:20], v[40:41], -v[19:20]
	v_cndmask_b32_e32 v8, 0, v24, vcc
	v_add_f64 v[17:18], v[17:18], v[19:20]
	v_add_f64 v[19:20], v[28:29], -v[7:8]
	v_addc_co_u32_e32 v8, vcc, 0, v48, vcc
	v_add_f64 v[28:29], v[19:20], v[17:18]
	v_mul_f64 v[30:31], v[28:29], s[24:25]
	v_add_f64 v[19:20], v[28:29], -v[19:20]
	v_fma_f64 v[32:33], v[28:29], s[24:25], -v[30:31]
	v_add_f64 v[17:18], v[17:18], -v[19:20]
	v_fma_f64 v[19:20], v[28:29], s[30:31], v[32:33]
	v_fma_f64 v[19:20], v[17:18], s[24:25], v[19:20]
	v_add_f64 v[17:18], v[30:31], v[19:20]
	v_add_f64 v[28:29], v[17:18], -v[30:31]
	v_add_f64 v[19:20], v[19:20], -v[28:29]
.LBB0_14:                               ;   in Loop: Header=BB0_12 Depth=1
	s_andn2_saveexec_b64 s[8:9], s[8:9]
	s_cbranch_execz .LBB0_11
; %bb.15:                               ;   in Loop: Header=BB0_12 Depth=1
	v_mul_f64 v[17:18], |v[15:16]|, s[34:35]
	s_mov_b32 s28, s36
	v_rndne_f64_e32 v[28:29], v[17:18]
	v_fma_f64 v[17:18], v[28:29], s[26:27], |v[15:16]|
	v_mul_f64 v[19:20], v[28:29], s[36:37]
	v_cvt_i32_f64_e32 v8, v[28:29]
	v_fma_f64 v[34:35], v[28:29], s[36:37], v[17:18]
	v_add_f64 v[30:31], v[17:18], v[19:20]
	v_add_f64 v[32:33], v[17:18], -v[30:31]
	v_add_f64 v[30:31], v[30:31], -v[34:35]
	v_add_f64 v[17:18], v[32:33], v[19:20]
	v_fma_f64 v[19:20], v[28:29], s[28:29], v[19:20]
	v_add_f64 v[17:18], v[30:31], v[17:18]
	v_add_f64 v[17:18], v[17:18], -v[19:20]
	v_fma_f64 v[19:20], v[28:29], s[38:39], v[17:18]
	v_add_f64 v[17:18], v[34:35], v[19:20]
	v_add_f64 v[30:31], v[17:18], -v[34:35]
	v_add_f64 v[19:20], v[19:20], -v[30:31]
	s_branch .LBB0_11
.LBB0_16:
	s_or_b64 exec, exec, s[14:15]
	buffer_load_dword v1, off, s[0:3], 0
	buffer_load_dword v2, off, s[0:3], 0 offset:4
	buffer_load_dword v8, off, s[0:3], 0 offset:8
	;; [unrolled: 1-line block ×33, first 2 shown]
	s_movk_i32 s8, 0x88
	v_mad_u32_u24 v7, v0, s8, 0
	v_cmp_gt_u32_e32 vcc, 17, v0
	s_waitcnt vmcnt(30)
	ds_write2_b64 v7, v[1:2], v[8:9] offset1:1
	s_waitcnt vmcnt(26)
	ds_write2_b64 v7, v[10:11], v[12:13] offset0:2 offset1:3
	s_waitcnt vmcnt(22)
	ds_write2_b64 v7, v[14:15], v[16:17] offset0:4 offset1:5
	;; [unrolled: 2-line block ×4, first 2 shown]
	ds_write2_b64 v7, v[26:27], v[28:29] offset0:10 offset1:11
	s_waitcnt vmcnt(6)
	ds_write2_b64 v7, v[30:31], v[32:33] offset0:12 offset1:13
	s_waitcnt vmcnt(2)
	;; [unrolled: 2-line block ×3, first 2 shown]
	ds_write_b64 v7, v[38:39] offset:128
	s_waitcnt lgkmcnt(0)
	s_barrier
	s_and_saveexec_b64 s[8:9], vcc
	s_cbranch_execnz .LBB0_19
; %bb.17:
	s_or_b64 exec, exec, s[8:9]
	s_and_saveexec_b64 s[8:9], s[4:5]
	s_cbranch_execnz .LBB0_24
.LBB0_18:
	s_endpgm
.LBB0_19:
	s_mul_i32 s7, s7, 17
	v_mov_b32_e32 v1, 0
	v_mov_b32_e32 v2, 0
	v_cmp_gt_u32_e32 vcc, s7, v0
	s_and_saveexec_b64 s[10:11], vcc
	s_cbranch_execz .LBB0_23
; %bb.20:
	v_mov_b32_e32 v1, 0
	v_lshl_add_u32 v8, v0, 3, 0
	v_mov_b32_e32 v2, 0
	s_mov_b64 s[12:13], 0
	v_mov_b32_e32 v9, v0
.LBB0_21:                               ; =>This Inner Loop Header: Depth=1
	ds_read_b64 v[10:11], v8
	v_add_u32_e32 v9, 17, v9
	v_cmp_le_u32_e32 vcc, s7, v9
	s_or_b64 s[12:13], vcc, s[12:13]
	v_add_u32_e32 v8, 0x88, v8
	s_waitcnt lgkmcnt(0)
	v_add_f64 v[1:2], v[1:2], v[10:11]
	s_andn2_b64 exec, exec, s[12:13]
	s_cbranch_execnz .LBB0_21
; %bb.22:
	s_or_b64 exec, exec, s[12:13]
.LBB0_23:
	s_or_b64 exec, exec, s[10:11]
	v_lshlrev_b32_e32 v0, 7, v0
	v_sub_u32_e32 v0, v7, v0
	ds_write_b64 v0, v[1:2]
	s_or_b64 exec, exec, s[8:9]
	s_and_saveexec_b64 s[8:9], s[4:5]
	s_cbranch_execz .LBB0_18
.LBB0_24:
	v_mov_b32_e32 v0, 0
	ds_read2_b64 v[7:10], v0 offset1:1
	ds_read2_b64 v[11:14], v0 offset0:2 offset1:3
	v_ldexp_f64 v[31:32], v[5:6], -2
	v_ldexp_f64 v[33:34], v[5:6], -3
	;; [unrolled: 1-line block ×3, first 2 shown]
	s_waitcnt lgkmcnt(1)
	v_add_f64 v[1:2], v[7:8], v[9:10]
	v_ldexp_f64 v[37:38], v[5:6], -5
	v_ldexp_f64 v[41:42], v[5:6], -6
	;; [unrolled: 1-line block ×7, first 2 shown]
	s_waitcnt lgkmcnt(0)
	v_add_f64 v[17:18], v[1:2], v[11:12]
	v_mul_f64 v[1:2], v[31:32], v[1:2]
	v_ldexp_f64 v[55:56], v[5:6], -12
	v_ldexp_f64 v[57:58], v[5:6], -13
	;; [unrolled: 1-line block ×4, first 2 shown]
	s_movk_i32 s5, 0xffef
	s_mov_b32 s4, 0
	v_add_f64 v[19:20], v[17:18], v[13:14]
	ds_read2_b64 v[9:12], v0 offset0:4 offset1:5
	ds_read2_b64 v[13:16], v0 offset0:6 offset1:7
	v_mul_f64 v[17:18], v[33:34], v[17:18]
	s_waitcnt lgkmcnt(1)
	v_add_f64 v[21:22], v[19:20], v[9:10]
	v_mul_f64 v[19:20], v[35:36], v[19:20]
	v_add_f64 v[23:24], v[21:22], v[11:12]
	s_waitcnt lgkmcnt(0)
	v_add_f64 v[25:26], v[23:24], v[13:14]
	v_add_f64 v[27:28], v[25:26], v[15:16]
	ds_read2_b64 v[9:12], v0 offset0:8 offset1:9
	ds_read2_b64 v[13:16], v0 offset0:10 offset1:11
	s_waitcnt lgkmcnt(1)
	v_add_f64 v[29:30], v[27:28], v[9:10]
	v_mul_f64 v[9:10], v[5:6], 0.5
	v_ldexp_f64 v[5:6], v[5:6], s5
	v_add_f64 v[39:40], v[29:30], v[11:12]
	v_mul_f64 v[7:8], v[9:10], v[7:8]
	s_waitcnt lgkmcnt(0)
	v_add_f64 v[53:54], v[39:40], v[13:14]
	buffer_store_dword v8, off, s[0:3], 0 offset:4
	buffer_store_dword v7, off, s[0:3], 0
	ds_read2_b64 v[7:10], v0 offset0:12 offset1:13
	ds_read2_b64 v[11:14], v0 offset0:14 offset1:15
	ds_read_b64 v[31:32], v0 offset:128
	buffer_store_dword v2, off, s[0:3], 0 offset:12
	buffer_store_dword v1, off, s[0:3], 0 offset:8
	v_mul_f64 v[0:1], v[37:38], v[21:22]
	buffer_store_dword v18, off, s[0:3], 0 offset:20
	buffer_store_dword v17, off, s[0:3], 0 offset:16
	v_mul_f64 v[17:18], v[41:42], v[23:24]
	v_add_f64 v[15:16], v[53:54], v[15:16]
	buffer_store_dword v20, off, s[0:3], 0 offset:28
	buffer_store_dword v19, off, s[0:3], 0 offset:24
	v_mul_f64 v[19:20], v[43:44], v[25:26]
	buffer_store_dword v1, off, s[0:3], 0 offset:36
	buffer_store_dword v0, off, s[0:3], 0 offset:32
	v_mul_f64 v[0:1], v[45:46], v[27:28]
	buffer_store_dword v18, off, s[0:3], 0 offset:44
	buffer_store_dword v17, off, s[0:3], 0 offset:40
	s_waitcnt lgkmcnt(2)
	v_add_f64 v[7:8], v[15:16], v[7:8]
	v_mul_f64 v[17:18], v[47:48], v[29:30]
	buffer_store_dword v20, off, s[0:3], 0 offset:52
	buffer_store_dword v19, off, s[0:3], 0 offset:48
	v_mul_f64 v[19:20], v[49:50], v[39:40]
	v_mul_f64 v[15:16], v[55:56], v[15:16]
	buffer_store_dword v1, off, s[0:3], 0 offset:60
	v_mul_f64 v[1:2], v[51:52], v[53:54]
	v_add_f64 v[9:10], v[7:8], v[9:10]
	buffer_store_dword v0, off, s[0:3], 0 offset:56
	buffer_store_dword v18, off, s[0:3], 0 offset:68
	buffer_store_dword v17, off, s[0:3], 0 offset:64
	v_mul_f64 v[7:8], v[57:58], v[7:8]
	buffer_store_dword v20, off, s[0:3], 0 offset:76
	buffer_store_dword v19, off, s[0:3], 0 offset:72
	buffer_store_dword v2, off, s[0:3], 0 offset:84
	buffer_store_dword v16, off, s[0:3], 0 offset:92
	buffer_store_dword v1, off, s[0:3], 0 offset:80
	s_waitcnt lgkmcnt(1)
	v_add_f64 v[11:12], v[9:10], v[11:12]
	v_mul_f64 v[0:1], v[59:60], v[9:10]
	buffer_store_dword v15, off, s[0:3], 0 offset:88
	buffer_store_dword v8, off, s[0:3], 0 offset:100
	v_add_f64 v[13:14], v[11:12], v[13:14]
	v_mul_f64 v[9:10], v[61:62], v[11:12]
	s_waitcnt lgkmcnt(0)
	v_add_f64 v[17:18], v[13:14], v[31:32]
	v_mul_f64 v[2:3], v[3:4], v[13:14]
	v_mul_f64 v[4:5], v[5:6], v[17:18]
	buffer_store_dword v7, off, s[0:3], 0 offset:96
	buffer_store_dword v1, off, s[0:3], 0 offset:108
	;; [unrolled: 1-line block ×9, first 2 shown]
.LBB0_25:                               ; =>This Loop Header: Depth=1
                                        ;     Child Loop BB0_26 Depth 2
                                        ;     Child Loop BB0_28 Depth 2
	s_lshl_b32 s5, s4, 1
	s_lshl_b32 s5, 2, s5
	s_add_i32 s5, s5, -1
	v_cvt_f64_u32_e32 v[0:1], s5
	s_mov_b32 s5, s33
	s_mov_b32 s7, 16
.LBB0_26:                               ;   Parent Loop BB0_25 Depth=1
                                        ; =>  This Inner Loop Header: Depth=2
	v_mov_b32_e32 v14, s5
	buffer_load_dword v2, v14, s[0:3], 0 offen
	buffer_load_dword v3, v14, s[0:3], 0 offen offset:4
	buffer_load_dword v4, v14, s[0:3], 0 offen offset:8
	;; [unrolled: 1-line block ×3, first 2 shown]
	s_add_i32 s7, s7, -1
	s_add_i32 s5, s5, -8
	s_cmp_le_u32 s7, s4
	s_waitcnt vmcnt(0)
	v_add_f64 v[2:3], v[4:5], -v[2:3]
	v_div_scale_f64 v[6:7], s[8:9], v[0:1], v[0:1], v[2:3]
	v_rcp_f64_e32 v[8:9], v[6:7]
	v_fma_f64 v[10:11], -v[6:7], v[8:9], 1.0
	v_fma_f64 v[8:9], v[8:9], v[10:11], v[8:9]
	v_div_scale_f64 v[10:11], vcc, v[2:3], v[0:1], v[2:3]
	v_fma_f64 v[12:13], -v[6:7], v[8:9], 1.0
	v_fma_f64 v[8:9], v[8:9], v[12:13], v[8:9]
	v_mul_f64 v[12:13], v[10:11], v[8:9]
	v_fma_f64 v[6:7], -v[6:7], v[12:13], v[10:11]
	v_div_fmas_f64 v[6:7], v[6:7], v[8:9], v[12:13]
	v_div_fixup_f64 v[2:3], v[6:7], v[0:1], v[2:3]
	v_add_f64 v[2:3], v[4:5], v[2:3]
	buffer_store_dword v2, v14, s[0:3], 0 offen offset:8
	buffer_store_dword v3, v14, s[0:3], 0 offen offset:12
	s_cbranch_scc0 .LBB0_26
; %bb.27:                               ;   in Loop: Header=BB0_25 Depth=1
	s_or_b32 s5, s4, 1
	s_lshl_b32 s7, s5, 1
	s_lshl_b32 s7, 2, s7
	s_add_i32 s7, s7, -1
	v_cvt_f64_u32_e32 v[0:1], s7
	s_mov_b32 s7, 16
	s_mov_b32 s8, s33
.LBB0_28:                               ;   Parent Loop BB0_25 Depth=1
                                        ; =>  This Inner Loop Header: Depth=2
	v_mov_b32_e32 v14, s8
	buffer_load_dword v2, v14, s[0:3], 0 offen
	buffer_load_dword v3, v14, s[0:3], 0 offen offset:4
	buffer_load_dword v4, v14, s[0:3], 0 offen offset:8
	;; [unrolled: 1-line block ×3, first 2 shown]
	s_add_i32 s7, s7, -1
	s_add_i32 s8, s8, -8
	s_cmp_gt_u32 s7, s5
	s_waitcnt vmcnt(0)
	v_add_f64 v[2:3], v[4:5], -v[2:3]
	v_div_scale_f64 v[6:7], s[10:11], v[0:1], v[0:1], v[2:3]
	v_rcp_f64_e32 v[8:9], v[6:7]
	v_fma_f64 v[10:11], -v[6:7], v[8:9], 1.0
	v_fma_f64 v[8:9], v[8:9], v[10:11], v[8:9]
	v_div_scale_f64 v[10:11], vcc, v[2:3], v[0:1], v[2:3]
	v_fma_f64 v[12:13], -v[6:7], v[8:9], 1.0
	v_fma_f64 v[8:9], v[8:9], v[12:13], v[8:9]
	v_mul_f64 v[12:13], v[10:11], v[8:9]
	v_fma_f64 v[6:7], -v[6:7], v[12:13], v[10:11]
	v_div_fmas_f64 v[6:7], v[6:7], v[8:9], v[12:13]
	v_div_fixup_f64 v[2:3], v[6:7], v[0:1], v[2:3]
	v_add_f64 v[2:3], v[4:5], v[2:3]
	buffer_store_dword v2, v14, s[0:3], 0 offen offset:8
	buffer_store_dword v3, v14, s[0:3], 0 offen offset:12
	s_cbranch_scc1 .LBB0_28
; %bb.29:                               ;   in Loop: Header=BB0_25 Depth=1
	s_add_i32 s4, s4, 2
	s_cmp_eq_u32 s4, 16
	s_cbranch_scc0 .LBB0_25
; %bb.30:
	buffer_load_dword v0, off, s[0:3], 0 offset:128
	buffer_load_dword v1, off, s[0:3], 0 offset:132
	s_mov_b32 s7, 0
	s_lshl_b64 s[4:5], s[6:7], 3
	s_add_u32 s4, s18, s4
	s_addc_u32 s5, s19, s5
	v_mov_b32_e32 v2, 0
	s_waitcnt vmcnt(0)
	global_store_dwordx2 v2, v[0:1], s[4:5]
	s_endpgm
	.section	.rodata,"a",@progbits
	.p2align	6, 0x0
	.amdhsa_kernel _Z7rombergddPd
		.amdhsa_group_segment_fixed_size 0
		.amdhsa_private_segment_fixed_size 144
		.amdhsa_kernarg_size 280
		.amdhsa_user_sgpr_count 6
		.amdhsa_user_sgpr_private_segment_buffer 1
		.amdhsa_user_sgpr_dispatch_ptr 0
		.amdhsa_user_sgpr_queue_ptr 0
		.amdhsa_user_sgpr_kernarg_segment_ptr 1
		.amdhsa_user_sgpr_dispatch_id 0
		.amdhsa_user_sgpr_flat_scratch_init 0
		.amdhsa_user_sgpr_private_segment_size 0
		.amdhsa_uses_dynamic_stack 0
		.amdhsa_system_sgpr_private_segment_wavefront_offset 1
		.amdhsa_system_sgpr_workgroup_id_x 1
		.amdhsa_system_sgpr_workgroup_id_y 0
		.amdhsa_system_sgpr_workgroup_id_z 0
		.amdhsa_system_sgpr_workgroup_info 0
		.amdhsa_system_vgpr_workitem_id 0
		.amdhsa_next_free_vgpr 63
		.amdhsa_next_free_sgpr 92
		.amdhsa_reserve_vcc 1
		.amdhsa_reserve_flat_scratch 0
		.amdhsa_float_round_mode_32 0
		.amdhsa_float_round_mode_16_64 0
		.amdhsa_float_denorm_mode_32 3
		.amdhsa_float_denorm_mode_16_64 3
		.amdhsa_dx10_clamp 1
		.amdhsa_ieee_mode 1
		.amdhsa_fp16_overflow 0
		.amdhsa_exception_fp_ieee_invalid_op 0
		.amdhsa_exception_fp_denorm_src 0
		.amdhsa_exception_fp_ieee_div_zero 0
		.amdhsa_exception_fp_ieee_overflow 0
		.amdhsa_exception_fp_ieee_underflow 0
		.amdhsa_exception_fp_ieee_inexact 0
		.amdhsa_exception_int_div_zero 0
	.end_amdhsa_kernel
	.text
.Lfunc_end0:
	.size	_Z7rombergddPd, .Lfunc_end0-_Z7rombergddPd
                                        ; -- End function
	.set _Z7rombergddPd.num_vgpr, 63
	.set _Z7rombergddPd.num_agpr, 0
	.set _Z7rombergddPd.numbered_sgpr, 92
	.set _Z7rombergddPd.num_named_barrier, 0
	.set _Z7rombergddPd.private_seg_size, 144
	.set _Z7rombergddPd.uses_vcc, 1
	.set _Z7rombergddPd.uses_flat_scratch, 0
	.set _Z7rombergddPd.has_dyn_sized_stack, 0
	.set _Z7rombergddPd.has_recursion, 0
	.set _Z7rombergddPd.has_indirect_call, 0
	.section	.AMDGPU.csdata,"",@progbits
; Kernel info:
; codeLenInByte = 7252
; TotalNumSgprs: 96
; NumVgprs: 63
; ScratchSize: 144
; MemoryBound: 0
; FloatMode: 240
; IeeeMode: 1
; LDSByteSize: 0 bytes/workgroup (compile time only)
; SGPRBlocks: 11
; VGPRBlocks: 15
; NumSGPRsForWavesPerEU: 96
; NumVGPRsForWavesPerEU: 63
; Occupancy: 4
; WaveLimiterHint : 0
; COMPUTE_PGM_RSRC2:SCRATCH_EN: 1
; COMPUTE_PGM_RSRC2:USER_SGPR: 6
; COMPUTE_PGM_RSRC2:TRAP_HANDLER: 0
; COMPUTE_PGM_RSRC2:TGID_X_EN: 1
; COMPUTE_PGM_RSRC2:TGID_Y_EN: 0
; COMPUTE_PGM_RSRC2:TGID_Z_EN: 0
; COMPUTE_PGM_RSRC2:TIDIG_COMP_CNT: 0
	.section	.AMDGPU.gpr_maximums,"",@progbits
	.set amdgpu.max_num_vgpr, 0
	.set amdgpu.max_num_agpr, 0
	.set amdgpu.max_num_sgpr, 0
	.section	.AMDGPU.csdata,"",@progbits
	.type	__hip_cuid_8d2c0aec878752aa,@object ; @__hip_cuid_8d2c0aec878752aa
	.section	.bss,"aw",@nobits
	.globl	__hip_cuid_8d2c0aec878752aa
__hip_cuid_8d2c0aec878752aa:
	.byte	0                               ; 0x0
	.size	__hip_cuid_8d2c0aec878752aa, 1

	.ident	"AMD clang version 22.0.0git (https://github.com/RadeonOpenCompute/llvm-project roc-7.2.4 26084 f58b06dce1f9c15707c5f808fd002e18c2accf7e)"
	.section	".note.GNU-stack","",@progbits
	.addrsig
	.addrsig_sym __hip_cuid_8d2c0aec878752aa
	.amdgpu_metadata
---
amdhsa.kernels:
  - .args:
      - .offset:         0
        .size:           8
        .value_kind:     by_value
      - .offset:         8
        .size:           8
        .value_kind:     by_value
      - .address_space:  global
        .offset:         16
        .size:           8
        .value_kind:     global_buffer
      - .offset:         24
        .size:           4
        .value_kind:     hidden_block_count_x
      - .offset:         28
        .size:           4
        .value_kind:     hidden_block_count_y
      - .offset:         32
        .size:           4
        .value_kind:     hidden_block_count_z
      - .offset:         36
        .size:           2
        .value_kind:     hidden_group_size_x
      - .offset:         38
        .size:           2
        .value_kind:     hidden_group_size_y
      - .offset:         40
        .size:           2
        .value_kind:     hidden_group_size_z
      - .offset:         42
        .size:           2
        .value_kind:     hidden_remainder_x
      - .offset:         44
        .size:           2
        .value_kind:     hidden_remainder_y
      - .offset:         46
        .size:           2
        .value_kind:     hidden_remainder_z
      - .offset:         64
        .size:           8
        .value_kind:     hidden_global_offset_x
      - .offset:         72
        .size:           8
        .value_kind:     hidden_global_offset_y
      - .offset:         80
        .size:           8
        .value_kind:     hidden_global_offset_z
      - .offset:         88
        .size:           2
        .value_kind:     hidden_grid_dims
      - .offset:         144
        .size:           4
        .value_kind:     hidden_dynamic_lds_size
    .group_segment_fixed_size: 0
    .kernarg_segment_align: 8
    .kernarg_segment_size: 280
    .language:       OpenCL C
    .language_version:
      - 2
      - 0
    .max_flat_workgroup_size: 1024
    .name:           _Z7rombergddPd
    .private_segment_fixed_size: 144
    .sgpr_count:     96
    .sgpr_spill_count: 0
    .symbol:         _Z7rombergddPd.kd
    .uniform_work_group_size: 1
    .uses_dynamic_stack: false
    .vgpr_count:     63
    .vgpr_spill_count: 0
    .wavefront_size: 64
amdhsa.target:   amdgcn-amd-amdhsa--gfx906
amdhsa.version:
  - 1
  - 2
...

	.end_amdgpu_metadata
